;; amdgpu-corpus repo=ROCm/rocFFT kind=compiled arch=gfx906 opt=O3
	.text
	.amdgcn_target "amdgcn-amd-amdhsa--gfx906"
	.amdhsa_code_object_version 6
	.protected	fft_rtc_fwd_len256_factors_4_2_2_16_wgs_256_tpt_16_dim3_sp_op_CI_CI_unitstride_sbrc_xy_z_aligned_dirReg ; -- Begin function fft_rtc_fwd_len256_factors_4_2_2_16_wgs_256_tpt_16_dim3_sp_op_CI_CI_unitstride_sbrc_xy_z_aligned_dirReg
	.globl	fft_rtc_fwd_len256_factors_4_2_2_16_wgs_256_tpt_16_dim3_sp_op_CI_CI_unitstride_sbrc_xy_z_aligned_dirReg
	.p2align	8
	.type	fft_rtc_fwd_len256_factors_4_2_2_16_wgs_256_tpt_16_dim3_sp_op_CI_CI_unitstride_sbrc_xy_z_aligned_dirReg,@function
fft_rtc_fwd_len256_factors_4_2_2_16_wgs_256_tpt_16_dim3_sp_op_CI_CI_unitstride_sbrc_xy_z_aligned_dirReg: ; @fft_rtc_fwd_len256_factors_4_2_2_16_wgs_256_tpt_16_dim3_sp_op_CI_CI_unitstride_sbrc_xy_z_aligned_dirReg
; %bb.0:
	s_load_dwordx8 s[8:15], s[4:5], 0x0
	s_mov_b32 s7, 0
	s_waitcnt lgkmcnt(0)
	s_load_dwordx4 s[24:27], s[10:11], 0x8
	s_mov_b32 s11, s7
	s_waitcnt lgkmcnt(0)
	s_add_i32 s0, s26, -1
	s_lshr_b32 s0, s0, 4
	s_add_i32 s0, s0, 1
	s_mul_i32 s10, s0, s24
	v_cvt_f32_u32_e32 v1, s10
	s_load_dwordx4 s[0:3], s[4:5], 0x50
	s_sub_i32 s4, 0, s10
	v_rcp_iflag_f32_e32 v1, v1
	v_mul_f32_e32 v1, 0x4f7ffffe, v1
	v_cvt_u32_f32_e32 v3, v1
	v_mov_b32_e32 v1, s24
	v_mov_b32_e32 v2, s25
	v_readfirstlane_b32 s5, v3
	s_mul_i32 s4, s4, s5
	s_mul_hi_u32 s4, s5, s4
	s_add_i32 s5, s5, s4
	s_mul_hi_u32 s4, s6, s5
	s_mul_i32 s5, s4, s10
	s_sub_i32 s5, s6, s5
	s_add_i32 s16, s4, 1
	s_sub_i32 s17, s5, s10
	s_cmp_ge_u32 s5, s10
	s_cselect_b32 s4, s16, s4
	s_cselect_b32 s5, s17, s5
	s_add_i32 s16, s4, 1
	s_cmp_ge_u32 s5, s10
	s_cselect_b32 s26, s16, s4
	s_mul_i32 s4, s26, s10
	s_sub_i32 s10, s6, s4
	v_cmp_lt_u64_e32 vcc, s[10:11], v[1:2]
	v_cvt_f32_u32_e32 v1, s24
	s_mov_b64 s[4:5], 0
	s_cbranch_vccnz .LBB0_2
; %bb.1:
	v_rcp_iflag_f32_e32 v2, v1
	s_sub_i32 s4, 0, s24
	v_mul_f32_e32 v2, 0x4f7ffffe, v2
	v_cvt_u32_f32_e32 v2, v2
	v_readfirstlane_b32 s5, v2
	s_mul_i32 s4, s4, s5
	s_mul_hi_u32 s4, s5, s4
	s_add_i32 s5, s5, s4
	s_mul_hi_u32 s4, s10, s5
	s_mul_i32 s11, s4, s24
	s_sub_i32 s10, s10, s11
	s_add_i32 s5, s4, 1
	s_sub_i32 s11, s10, s24
	s_cmp_ge_u32 s10, s24
	s_cselect_b32 s4, s5, s4
	s_cselect_b32 s10, s11, s10
	s_add_i32 s5, s4, 1
	s_cmp_ge_u32 s10, s24
	s_cselect_b32 s4, s5, s4
.LBB0_2:
	s_load_dwordx4 s[20:23], s[12:13], 0x8
	s_load_dwordx4 s[16:19], s[14:15], 0x8
	v_mov_b32_e32 v2, s24
	v_mov_b32_e32 v3, s25
	v_cmp_lt_u64_e32 vcc, s[6:7], v[2:3]
	s_cbranch_vccnz .LBB0_4
; %bb.3:
	v_rcp_iflag_f32_e32 v1, v1
	s_sub_i32 s5, 0, s24
	v_mul_f32_e32 v1, 0x4f7ffffe, v1
	v_cvt_u32_f32_e32 v1, v1
	v_readfirstlane_b32 s7, v1
	s_mul_i32 s5, s5, s7
	s_mul_hi_u32 s5, s7, s5
	s_add_i32 s7, s7, s5
	s_mul_hi_u32 s5, s6, s7
	s_mul_i32 s5, s5, s24
	s_sub_i32 s5, s6, s5
	s_sub_i32 s6, s5, s24
	s_cmp_ge_u32 s5, s24
	s_cselect_b32 s5, s6, s5
	s_sub_i32 s6, s5, s24
	s_cmp_ge_u32 s5, s24
	s_cselect_b32 s6, s6, s5
.LBB0_4:
	s_lshl_b32 s7, s4, 4
	s_waitcnt lgkmcnt(0)
	s_mul_i32 s5, s6, s20
	s_load_dwordx2 s[12:13], s[12:13], 0x18
	s_mul_i32 s4, s7, s22
	s_add_i32 s10, s5, s4
	s_load_dwordx2 s[4:5], s[14:15], 0x18
	s_mov_b32 s11, 0
	s_waitcnt lgkmcnt(0)
	s_mul_i32 s13, s13, s26
	s_mul_hi_u32 s14, s12, s26
	s_add_i32 s13, s14, s13
	s_mul_i32 s12, s12, s26
	s_mul_i32 s5, s5, s26
	s_mul_hi_u32 s14, s4, s26
	s_add_i32 s5, s14, s5
	s_lshl_b64 s[12:13], s[12:13], 3
	s_add_u32 s12, s0, s12
	s_addc_u32 s13, s1, s13
	s_lshl_b64 s[0:1], s[10:11], 3
	s_add_u32 s0, s12, s0
	s_addc_u32 s1, s13, s1
	v_lshlrev_b32_e32 v15, 3, v0
	v_mov_b32_e32 v1, s1
	v_add_co_u32_e32 v33, vcc, s0, v15
	s_mov_b32 s23, s11
	v_addc_co_u32_e32 v34, vcc, 0, v1, vcc
	s_lshl_b64 s[12:13], s[22:23], 3
	v_mov_b32_e32 v2, s13
	v_add_co_u32_e32 v1, vcc, s12, v33
	s_add_i32 s10, s22, s22
	v_addc_co_u32_e32 v2, vcc, v34, v2, vcc
	s_lshl_b64 s[12:13], s[10:11], 3
	v_mov_b32_e32 v4, s13
	v_add_co_u32_e32 v3, vcc, s12, v33
	s_add_i32 s10, s10, s22
	;; [unrolled: 5-line block ×3, first 2 shown]
	v_addc_co_u32_e32 v6, vcc, v34, v6, vcc
	global_load_dwordx2 v[7:8], v15, s[0:1]
	global_load_dwordx2 v[9:10], v[1:2], off
	global_load_dwordx2 v[11:12], v[3:4], off
	global_load_dwordx2 v[13:14], v[5:6], off
	s_lshl_b64 s[0:1], s[10:11], 3
	v_mov_b32_e32 v2, s1
	v_add_co_u32_e32 v1, vcc, s0, v33
	s_add_i32 s10, s10, s22
	v_addc_co_u32_e32 v2, vcc, v34, v2, vcc
	s_lshl_b64 s[0:1], s[10:11], 3
	v_mov_b32_e32 v4, s1
	v_add_co_u32_e32 v3, vcc, s0, v33
	s_add_i32 s10, s10, s22
	v_addc_co_u32_e32 v4, vcc, v34, v4, vcc
	;; [unrolled: 5-line block ×4, first 2 shown]
	s_lshl_b64 s[0:1], s[10:11], 3
	global_load_dwordx2 v[17:18], v[1:2], off
	global_load_dwordx2 v[19:20], v[3:4], off
	;; [unrolled: 1-line block ×4, first 2 shown]
	s_add_i32 s10, s10, s22
	v_mov_b32_e32 v2, s1
	v_add_co_u32_e32 v1, vcc, s0, v33
	s_lshl_b64 s[12:13], s[10:11], 3
	v_addc_co_u32_e32 v2, vcc, v34, v2, vcc
	v_mov_b32_e32 v4, s13
	v_add_co_u32_e32 v3, vcc, s12, v33
	s_add_i32 s10, s10, s22
	v_addc_co_u32_e32 v4, vcc, v34, v4, vcc
	s_lshl_b64 s[0:1], s[10:11], 3
	v_mov_b32_e32 v6, s1
	v_add_co_u32_e32 v5, vcc, s0, v33
	s_add_i32 s10, s10, s22
	v_addc_co_u32_e32 v6, vcc, v34, v6, vcc
	s_lshl_b64 s[0:1], s[10:11], 3
	;; [unrolled: 5-line block ×3, first 2 shown]
	global_load_dwordx2 v[25:26], v[1:2], off
	global_load_dwordx2 v[27:28], v[3:4], off
	;; [unrolled: 1-line block ×4, first 2 shown]
	v_mov_b32_e32 v2, s1
	v_add_co_u32_e32 v1, vcc, s0, v33
	s_add_i32 s10, s10, s22
	v_addc_co_u32_e32 v2, vcc, v34, v2, vcc
	s_lshl_b64 s[0:1], s[10:11], 3
	v_mov_b32_e32 v4, s1
	v_add_co_u32_e32 v3, vcc, s0, v33
	s_add_i32 s10, s10, s22
	v_addc_co_u32_e32 v4, vcc, v34, v4, vcc
	s_lshl_b64 s[0:1], s[10:11], 3
	;; [unrolled: 5-line block ×3, first 2 shown]
	v_mov_b32_e32 v16, s1
	v_add_co_u32_e32 v15, vcc, s0, v33
	v_addc_co_u32_e32 v16, vcc, v34, v16, vcc
	global_load_dwordx2 v[33:34], v[1:2], off
	global_load_dwordx2 v[35:36], v[3:4], off
	;; [unrolled: 1-line block ×4, first 2 shown]
	v_lshl_add_u32 v1, v0, 7, 0
	s_waitcnt vmcnt(14)
	ds_write2_b64 v1, v[7:8], v[9:10] offset1:1
	s_waitcnt vmcnt(12)
	ds_write2_b64 v1, v[11:12], v[13:14] offset0:2 offset1:3
	s_waitcnt vmcnt(10)
	ds_write2_b64 v1, v[17:18], v[19:20] offset0:4 offset1:5
	;; [unrolled: 2-line block ×3, first 2 shown]
	v_and_b32_e32 v2, 15, v0
	s_waitcnt vmcnt(6)
	ds_write2_b64 v1, v[25:26], v[27:28] offset0:8 offset1:9
	s_waitcnt vmcnt(4)
	ds_write2_b64 v1, v[29:30], v[31:32] offset0:10 offset1:11
	s_waitcnt vmcnt(2)
	ds_write2_b64 v1, v[33:34], v[35:36] offset0:12 offset1:13
	s_waitcnt vmcnt(0)
	ds_write2_b64 v1, v[37:38], v[39:40] offset0:14 offset1:15
	v_lshrrev_b32_e32 v1, 4, v0
	v_lshlrev_b32_e32 v3, 7, v1
	v_lshlrev_b32_e32 v4, 3, v2
	v_add3_u32 v3, 0, v3, v4
	s_waitcnt lgkmcnt(0)
	s_barrier
	ds_read2st64_b64 v[5:8], v3 offset1:4
	ds_read2st64_b64 v[9:12], v3 offset0:32 offset1:36
	ds_read2st64_b64 v[13:16], v3 offset0:16 offset1:20
	;; [unrolled: 1-line block ×3, first 2 shown]
	s_movk_i32 s0, 0x180
	v_mad_u32_u24 v37, v1, s0, v3
	s_waitcnt lgkmcnt(2)
	v_sub_f32_e32 v21, v5, v9
	v_sub_f32_e32 v22, v6, v10
	s_waitcnt lgkmcnt(0)
	v_sub_f32_e32 v17, v13, v17
	v_sub_f32_e32 v18, v14, v18
	v_fma_f32 v9, v5, 2.0, -v21
	v_fma_f32 v10, v6, 2.0, -v22
	;; [unrolled: 1-line block ×4, first 2 shown]
	v_sub_f32_e32 v5, v9, v5
	v_sub_f32_e32 v6, v10, v6
	;; [unrolled: 1-line block ×3, first 2 shown]
	v_add_f32_e32 v14, v22, v17
	v_fma_f32 v9, v9, 2.0, -v5
	v_fma_f32 v10, v10, 2.0, -v6
	;; [unrolled: 1-line block ×4, first 2 shown]
	ds_read2st64_b64 v[21:24], v3 offset0:8 offset1:12
	ds_read2st64_b64 v[25:28], v3 offset0:24 offset1:28
	;; [unrolled: 1-line block ×4, first 2 shown]
	s_waitcnt lgkmcnt(0)
	s_barrier
	ds_write2_b64 v37, v[9:10], v[17:18] offset1:16
	ds_write2_b64 v37, v[5:6], v[13:14] offset0:32 offset1:48
	v_sub_f32_e32 v11, v7, v11
	v_sub_f32_e32 v12, v8, v12
	v_sub_f32_e32 v10, v15, v19
	v_sub_f32_e32 v9, v16, v20
	v_fma_f32 v7, v7, 2.0, -v11
	v_fma_f32 v8, v8, 2.0, -v12
	v_fma_f32 v5, v15, 2.0, -v10
	v_fma_f32 v6, v16, 2.0, -v9
	v_or_b32_e32 v46, 16, v1
	v_sub_f32_e32 v5, v7, v5
	v_sub_f32_e32 v6, v8, v6
	v_sub_f32_e32 v9, v11, v9
	v_add_f32_e32 v10, v12, v10
	v_lshlrev_b32_e32 v13, 9, v46
	v_fma_f32 v7, v7, 2.0, -v5
	v_fma_f32 v8, v8, 2.0, -v6
	v_fma_f32 v11, v11, 2.0, -v9
	v_fma_f32 v12, v12, 2.0, -v10
	v_add3_u32 v13, 0, v13, v4
	ds_write2_b64 v13, v[7:8], v[11:12] offset1:16
	ds_write2_b64 v13, v[5:6], v[9:10] offset0:32 offset1:48
	v_sub_f32_e32 v11, v21, v29
	v_sub_f32_e32 v12, v22, v30
	v_sub_f32_e32 v10, v25, v33
	v_sub_f32_e32 v9, v26, v34
	v_fma_f32 v7, v21, 2.0, -v11
	v_fma_f32 v8, v22, 2.0, -v12
	v_fma_f32 v5, v25, 2.0, -v10
	v_fma_f32 v6, v26, 2.0, -v9
	v_or_b32_e32 v47, 32, v1
	v_sub_f32_e32 v5, v7, v5
	v_sub_f32_e32 v6, v8, v6
	v_sub_f32_e32 v9, v11, v9
	v_add_f32_e32 v10, v12, v10
	v_lshlrev_b32_e32 v14, 9, v47
	v_fma_f32 v7, v7, 2.0, -v5
	v_fma_f32 v8, v8, 2.0, -v6
	v_fma_f32 v11, v11, 2.0, -v9
	v_fma_f32 v12, v12, 2.0, -v10
	v_add3_u32 v14, 0, v14, v4
	;; [unrolled: 21-line block ×3, first 2 shown]
	v_bfe_u32 v49, v0, 4, 2
	ds_write2_b64 v15, v[7:8], v[11:12] offset1:16
	ds_write2_b64 v15, v[5:6], v[9:10] offset0:32 offset1:48
	v_lshlrev_b32_e32 v5, 3, v49
	s_waitcnt lgkmcnt(0)
	s_barrier
	global_load_dwordx2 v[24:25], v5, s[8:9]
	ds_read2st64_b64 v[5:8], v3 offset1:32
	v_or_b32_e32 v50, 64, v1
	v_or_b32_e32 v51, 0x50, v1
	;; [unrolled: 1-line block ×3, first 2 shown]
	s_movk_i32 s0, 0xfe80
	v_or_b32_e32 v53, 0x70, v1
	v_mad_i32_i24 v11, v46, s0, v13
	v_lshlrev_b32_e32 v55, 1, v1
	v_mad_i32_i24 v10, v48, s0, v15
	v_add_u32_e32 v54, 0x7800, v3
	v_and_or_b32 v56, v55, 24, v49
	v_lshlrev_b32_e32 v56, 7, v56
	v_add3_u32 v56, 0, v56, v4
	v_lshlrev_b32_e32 v46, 1, v46
	v_lshlrev_b32_e32 v48, 1, v48
	v_bfe_u32 v0, v0, 4, 3
	s_mul_i32 s10, s6, s18
	s_mul_i32 s4, s4, s26
	v_or_b32_e32 v2, s7, v2
	s_waitcnt vmcnt(0) lgkmcnt(0)
	v_mul_f32_e32 v9, v25, v8
	v_fma_f32 v9, v24, v7, -v9
	v_sub_f32_e32 v26, v5, v9
	v_mul_f32_e32 v7, v25, v7
	v_fma_f32 v28, v5, 2.0, -v26
	v_lshlrev_b32_e32 v5, 7, v50
	v_fmac_f32_e32 v7, v24, v8
	v_add3_u32 v8, 0, v5, v4
	v_lshlrev_b32_e32 v5, 7, v51
	v_sub_f32_e32 v27, v6, v7
	v_add3_u32 v7, 0, v5, v4
	v_lshlrev_b32_e32 v5, 7, v52
	v_fma_f32 v29, v6, 2.0, -v27
	v_add3_u32 v6, 0, v5, v4
	v_lshlrev_b32_e32 v5, 7, v53
	v_mad_i32_i24 v9, v47, s0, v14
	v_add3_u32 v5, 0, v5, v4
	ds_read_b64 v[30:31], v11
	ds_read_b64 v[32:33], v9
	;; [unrolled: 1-line block ×7, first 2 shown]
	ds_read2_b32 v[44:45], v54 offset1:1
	ds_read2st64_b64 v[12:15], v3 offset0:36 offset1:40
	ds_read2st64_b64 v[16:19], v3 offset0:44 offset1:48
	ds_read2st64_b64 v[20:23], v3 offset0:52 offset1:56
	s_waitcnt lgkmcnt(0)
	s_barrier
	ds_write2st64_b64 v56, v[28:29], v[26:27] offset1:1
	v_mul_f32_e32 v26, v25, v13
	v_mul_f32_e32 v27, v25, v12
	v_fma_f32 v26, v24, v12, -v26
	v_fmac_f32_e32 v27, v24, v13
	v_and_or_b32 v28, v46, 56, v49
	v_sub_f32_e32 v12, v30, v26
	v_sub_f32_e32 v13, v31, v27
	v_lshlrev_b32_e32 v28, 7, v28
	v_fma_f32 v26, v30, 2.0, -v12
	v_fma_f32 v27, v31, 2.0, -v13
	v_add3_u32 v28, 0, v28, v4
	ds_write2st64_b64 v28, v[26:27], v[12:13] offset1:1
	v_mul_f32_e32 v12, v25, v15
	v_mul_f32_e32 v13, v25, v14
	v_lshlrev_b32_e32 v47, 1, v47
	s_movk_i32 s0, 0x58
	v_fma_f32 v12, v24, v14, -v12
	v_fmac_f32_e32 v13, v24, v15
	v_and_or_b32 v26, v47, s0, v49
	v_sub_f32_e32 v12, v32, v12
	v_sub_f32_e32 v13, v33, v13
	v_lshlrev_b32_e32 v26, 7, v26
	v_fma_f32 v14, v32, 2.0, -v12
	v_fma_f32 v15, v33, 2.0, -v13
	v_add3_u32 v26, 0, v26, v4
	ds_write2st64_b64 v26, v[14:15], v[12:13] offset1:1
	v_mul_f32_e32 v12, v25, v17
	v_mul_f32_e32 v13, v25, v16
	s_movk_i32 s0, 0x78
	v_fma_f32 v12, v24, v16, -v12
	v_fmac_f32_e32 v13, v24, v17
	v_and_or_b32 v16, v48, s0, v49
	v_sub_f32_e32 v12, v34, v12
	v_sub_f32_e32 v13, v35, v13
	v_lshlrev_b32_e32 v16, 7, v16
	v_fma_f32 v14, v34, 2.0, -v12
	v_fma_f32 v15, v35, 2.0, -v13
	v_add3_u32 v16, 0, v16, v4
	ds_write2st64_b64 v16, v[14:15], v[12:13] offset1:1
	v_mul_f32_e32 v12, v25, v19
	v_mul_f32_e32 v13, v25, v18
	v_lshlrev_b32_e32 v50, 1, v50
	s_movk_i32 s0, 0x98
	v_fma_f32 v12, v24, v18, -v12
	v_fmac_f32_e32 v13, v24, v19
	v_and_or_b32 v16, v50, s0, v49
	v_sub_f32_e32 v12, v36, v12
	v_sub_f32_e32 v13, v37, v13
	v_lshlrev_b32_e32 v16, 7, v16
	v_fma_f32 v14, v36, 2.0, -v12
	v_fma_f32 v15, v37, 2.0, -v13
	v_add3_u32 v16, 0, v16, v4
	ds_write2st64_b64 v16, v[14:15], v[12:13] offset1:1
	v_mul_f32_e32 v12, v25, v21
	v_mul_f32_e32 v13, v25, v20
	v_lshlrev_b32_e32 v51, 1, v51
	s_movk_i32 s0, 0xb8
	v_fma_f32 v12, v24, v20, -v12
	v_fmac_f32_e32 v13, v24, v21
	v_and_or_b32 v16, v51, s0, v49
	v_sub_f32_e32 v12, v38, v12
	v_sub_f32_e32 v13, v39, v13
	v_lshlrev_b32_e32 v16, 7, v16
	v_fma_f32 v14, v38, 2.0, -v12
	v_fma_f32 v15, v39, 2.0, -v13
	v_add3_u32 v16, 0, v16, v4
	ds_write2st64_b64 v16, v[14:15], v[12:13] offset1:1
	v_mul_f32_e32 v12, v25, v23
	v_mul_f32_e32 v13, v25, v22
	v_lshlrev_b32_e32 v52, 1, v52
	s_movk_i32 s0, 0xd8
	v_fma_f32 v12, v24, v22, -v12
	v_fmac_f32_e32 v13, v24, v23
	v_and_or_b32 v16, v52, s0, v49
	v_sub_f32_e32 v12, v40, v12
	v_sub_f32_e32 v13, v41, v13
	v_lshlrev_b32_e32 v16, 7, v16
	v_fma_f32 v14, v40, 2.0, -v12
	v_fma_f32 v15, v41, 2.0, -v13
	v_add3_u32 v16, 0, v16, v4
	ds_write2st64_b64 v16, v[14:15], v[12:13] offset1:1
	v_mul_f32_e32 v12, v45, v25
	v_mul_f32_e32 v13, v25, v44
	v_lshlrev_b32_e32 v53, 1, v53
	s_movk_i32 s0, 0xf8
	v_fma_f32 v12, v24, v44, -v12
	v_fmac_f32_e32 v13, v45, v24
	v_and_or_b32 v16, v53, s0, v49
	v_sub_f32_e32 v12, v42, v12
	v_sub_f32_e32 v13, v43, v13
	v_lshlrev_b32_e32 v16, 7, v16
	v_fma_f32 v14, v42, 2.0, -v12
	v_fma_f32 v15, v43, 2.0, -v13
	v_add3_u32 v16, 0, v16, v4
	ds_write2st64_b64 v16, v[14:15], v[12:13] offset1:1
	v_lshlrev_b32_e32 v12, 3, v0
	s_waitcnt lgkmcnt(0)
	s_barrier
	global_load_dwordx2 v[24:25], v12, s[8:9] offset:32
	ds_read2st64_b64 v[12:15], v3 offset1:32
	v_and_or_b32 v49, v55, 16, v0
	v_lshlrev_b32_e32 v49, 7, v49
	v_add3_u32 v49, 0, v49, v4
	s_movk_i32 s0, 0x50
	s_waitcnt vmcnt(0) lgkmcnt(0)
	v_mul_f32_e32 v16, v25, v15
	v_fma_f32 v16, v24, v14, -v16
	v_mul_f32_e32 v14, v25, v14
	v_fmac_f32_e32 v14, v24, v15
	v_sub_f32_e32 v26, v12, v16
	v_sub_f32_e32 v27, v13, v14
	v_fma_f32 v28, v12, 2.0, -v26
	v_fma_f32 v29, v13, 2.0, -v27
	ds_read2_b32 v[30:31], v54 offset1:1
	ds_read_b64 v[32:33], v11
	ds_read_b64 v[34:35], v9
	;; [unrolled: 1-line block ×7, first 2 shown]
	ds_read2st64_b64 v[12:15], v3 offset0:36 offset1:40
	ds_read2st64_b64 v[16:19], v3 offset0:44 offset1:48
	;; [unrolled: 1-line block ×3, first 2 shown]
	s_waitcnt lgkmcnt(0)
	s_barrier
	ds_write2st64_b64 v49, v[28:29], v[26:27] offset1:2
	v_mul_f32_e32 v26, v25, v13
	v_mul_f32_e32 v27, v25, v12
	v_fma_f32 v26, v24, v12, -v26
	v_fmac_f32_e32 v27, v24, v13
	v_and_or_b32 v28, v46, 48, v0
	v_sub_f32_e32 v12, v32, v26
	v_sub_f32_e32 v13, v33, v27
	v_lshlrev_b32_e32 v28, 7, v28
	v_fma_f32 v26, v32, 2.0, -v12
	v_fma_f32 v27, v33, 2.0, -v13
	v_add3_u32 v28, 0, v28, v4
	ds_write2st64_b64 v28, v[26:27], v[12:13] offset1:2
	v_mul_f32_e32 v12, v25, v15
	v_mul_f32_e32 v13, v25, v14
	v_fma_f32 v12, v24, v14, -v12
	v_fmac_f32_e32 v13, v24, v15
	v_and_or_b32 v26, v47, s0, v0
	v_sub_f32_e32 v12, v34, v12
	v_sub_f32_e32 v13, v35, v13
	v_lshlrev_b32_e32 v26, 7, v26
	v_fma_f32 v14, v34, 2.0, -v12
	v_fma_f32 v15, v35, 2.0, -v13
	v_add3_u32 v26, 0, v26, v4
	ds_write2st64_b64 v26, v[14:15], v[12:13] offset1:2
	v_mul_f32_e32 v12, v25, v17
	v_mul_f32_e32 v13, v25, v16
	s_movk_i32 s0, 0x70
	v_fma_f32 v12, v24, v16, -v12
	v_fmac_f32_e32 v13, v24, v17
	v_and_or_b32 v16, v48, s0, v0
	v_sub_f32_e32 v12, v36, v12
	v_sub_f32_e32 v13, v37, v13
	v_lshlrev_b32_e32 v16, 7, v16
	v_fma_f32 v14, v36, 2.0, -v12
	v_fma_f32 v15, v37, 2.0, -v13
	v_add3_u32 v16, 0, v16, v4
	ds_write2st64_b64 v16, v[14:15], v[12:13] offset1:2
	v_mul_f32_e32 v12, v25, v19
	v_mul_f32_e32 v13, v25, v18
	s_movk_i32 s0, 0x90
	;; [unrolled: 13-line block ×5, first 2 shown]
	v_fma_f32 v12, v24, v30, -v12
	v_fmac_f32_e32 v13, v31, v24
	v_and_or_b32 v0, v53, s0, v0
	v_sub_f32_e32 v12, v44, v12
	v_sub_f32_e32 v13, v45, v13
	v_lshlrev_b32_e32 v0, 7, v0
	v_fma_f32 v14, v44, 2.0, -v12
	v_fma_f32 v15, v45, 2.0, -v13
	v_add3_u32 v0, 0, v0, v4
	ds_write2st64_b64 v0, v[14:15], v[12:13] offset1:2
	v_mul_u32_u24_e32 v0, 15, v1
	v_lshlrev_b32_e32 v0, 3, v0
	s_waitcnt lgkmcnt(0)
	s_barrier
	global_load_dwordx4 v[12:15], v0, s[8:9] offset:160
	global_load_dwordx4 v[16:19], v0, s[8:9] offset:176
	;; [unrolled: 1-line block ×7, first 2 shown]
	global_load_dwordx2 v[48:49], v0, s[8:9] offset:208
	ds_read2st64_b64 v[40:43], v3 offset0:36 offset1:40
	ds_read2st64_b64 v[44:47], v3 offset0:44 offset1:48
	s_lshl_b64 s[0:1], s[10:11], 3
	s_add_u32 s2, s2, s0
	s_addc_u32 s3, s3, s1
	s_lshl_b64 s[0:1], s[4:5], 3
	s_add_u32 s0, s0, s2
	s_addc_u32 s1, s1, s3
	s_waitcnt vmcnt(7) lgkmcnt(1)
	v_mul_f32_e32 v0, v41, v13
	v_fma_f32 v50, v40, v12, -v0
	v_mul_f32_e32 v40, v40, v13
	v_mul_f32_e32 v0, v43, v15
	v_fmac_f32_e32 v40, v41, v12
	v_fma_f32 v41, v42, v14, -v0
	v_mul_f32_e32 v42, v42, v15
	v_fmac_f32_e32 v42, v43, v14
	ds_read2st64_b64 v[12:15], v3 offset0:52 offset1:56
	s_waitcnt vmcnt(6) lgkmcnt(1)
	v_mul_f32_e32 v0, v45, v17
	v_fma_f32 v43, v44, v16, -v0
	v_mul_f32_e32 v0, v47, v19
	v_mul_f32_e32 v17, v44, v17
	v_fma_f32 v44, v46, v18, -v0
	v_mul_f32_e32 v19, v46, v19
	s_waitcnt vmcnt(5) lgkmcnt(0)
	v_mul_f32_e32 v0, v13, v21
	v_fmac_f32_e32 v19, v47, v18
	v_fma_f32 v18, v12, v20, -v0
	v_mul_f32_e32 v21, v12, v21
	ds_read_b64 v[11:12], v11
	v_mul_f32_e32 v0, v15, v23
	v_fmac_f32_e32 v21, v13, v20
	v_fma_f32 v20, v14, v22, -v0
	v_mul_f32_e32 v23, v14, v23
	s_waitcnt vmcnt(4) lgkmcnt(0)
	v_mul_f32_e32 v0, v25, v12
	v_mul_f32_e32 v25, v25, v11
	v_fmac_f32_e32 v17, v45, v16
	v_fmac_f32_e32 v23, v15, v22
	ds_read_b64 v[13:14], v9
	ds_read_b64 v[9:10], v10
	ds_read_b64 v[15:16], v3 offset:30720
	v_fma_f32 v22, v24, v11, -v0
	v_fmac_f32_e32 v25, v24, v12
	ds_read_b64 v[11:12], v8
	ds_read2_b32 v[7:8], v7 offset1:1
	s_waitcnt lgkmcnt(4)
	v_mul_f32_e32 v0, v27, v14
	v_fma_f32 v24, v26, v13, -v0
	v_mul_f32_e32 v13, v27, v13
	s_waitcnt vmcnt(3) lgkmcnt(3)
	v_mul_f32_e32 v0, v29, v10
	v_fmac_f32_e32 v13, v26, v14
	v_fma_f32 v14, v28, v9, -v0
	v_mul_f32_e32 v26, v29, v9
	s_waitcnt lgkmcnt(1)
	v_mul_f32_e32 v0, v31, v12
	v_fmac_f32_e32 v26, v28, v10
	v_fma_f32 v27, v30, v11, -v0
	v_mul_f32_e32 v11, v31, v11
	s_waitcnt vmcnt(2) lgkmcnt(0)
	v_mul_f32_e32 v0, v8, v33
	ds_read_b64 v[9:10], v6
	v_mul_f32_e32 v28, v33, v7
	v_fmac_f32_e32 v11, v30, v12
	v_fma_f32 v12, v32, v7, -v0
	v_fmac_f32_e32 v28, v8, v32
	ds_read_b64 v[7:8], v5
	ds_read2st64_b64 v[3:6], v3 offset1:32
	s_waitcnt lgkmcnt(2)
	v_mul_f32_e32 v0, v10, v35
	v_fma_f32 v29, v9, v34, -v0
	v_mul_f32_e32 v9, v9, v35
	s_waitcnt vmcnt(1) lgkmcnt(1)
	v_mul_f32_e32 v0, v8, v37
	v_fmac_f32_e32 v9, v10, v34
	v_fma_f32 v10, v7, v36, -v0
	s_waitcnt lgkmcnt(0)
	v_mul_f32_e32 v0, v6, v39
	v_fma_f32 v0, v5, v38, -v0
	v_mul_f32_e32 v5, v5, v39
	v_mul_f32_e32 v7, v7, v37
	v_fmac_f32_e32 v5, v6, v38
	s_waitcnt vmcnt(0)
	v_mul_f32_e32 v6, v16, v49
	v_fmac_f32_e32 v7, v8, v36
	v_fma_f32 v6, v15, v48, -v6
	v_mul_f32_e32 v8, v15, v49
	v_sub_f32_e32 v15, v3, v0
	v_fmac_f32_e32 v8, v16, v48
	v_sub_f32_e32 v16, v4, v5
	v_fma_f32 v30, v3, 2.0, -v15
	v_mov_b32_e32 v3, 0
	v_fma_f32 v31, v4, 2.0, -v16
	v_lshlrev_b64 v[4:5], 3, v[2:3]
	v_mov_b32_e32 v32, s1
	v_add_co_u32_e32 v33, vcc, s0, v4
	v_sub_f32_e32 v19, v11, v19
	v_addc_co_u32_e32 v32, vcc, v32, v5, vcc
	v_sub_f32_e32 v34, v27, v44
	v_fma_f32 v5, v11, 2.0, -v19
	v_sub_f32_e32 v11, v24, v41
	v_sub_f32_e32 v20, v29, v20
	v_mul_lo_u32 v0, v1, s16
	v_fma_f32 v4, v27, 2.0, -v34
	v_sub_f32_e32 v27, v13, v42
	v_fma_f32 v24, v24, 2.0, -v11
	v_sub_f32_e32 v23, v9, v23
	;; [unrolled: 2-line block ×3, first 2 shown]
	v_sub_f32_e32 v36, v25, v40
	v_sub_f32_e32 v18, v12, v18
	;; [unrolled: 1-line block ×7, first 2 shown]
	v_fma_f32 v13, v13, 2.0, -v27
	v_fma_f32 v9, v9, 2.0, -v23
	;; [unrolled: 1-line block ×10, first 2 shown]
	v_sub_f32_e32 v10, v30, v4
	v_sub_f32_e32 v39, v31, v5
	;; [unrolled: 1-line block ×3, first 2 shown]
	v_fma_f32 v4, v30, 2.0, -v10
	v_fma_f32 v5, v31, 2.0, -v39
	v_sub_f32_e32 v30, v13, v9
	v_fma_f32 v9, v24, 2.0, -v29
	v_sub_f32_e32 v12, v22, v12
	v_sub_f32_e32 v24, v25, v28
	;; [unrolled: 1-line block ×4, first 2 shown]
	v_mov_b32_e32 v1, v3
	v_fma_f32 v13, v13, 2.0, -v30
	v_fma_f32 v22, v22, 2.0, -v12
	;; [unrolled: 1-line block ×5, first 2 shown]
	v_lshlrev_b64 v[1:2], 3, v[0:1]
	v_sub_f32_e32 v14, v4, v9
	v_sub_f32_e32 v26, v5, v13
	;; [unrolled: 1-line block ×4, first 2 shown]
	v_fma_f32 v9, v4, 2.0, -v14
	v_fma_f32 v13, v5, 2.0, -v26
	v_fma_f32 v4, v22, 2.0, -v40
	v_fma_f32 v5, v25, 2.0, -v41
	v_add_co_u32_e32 v1, vcc, v33, v1
	v_sub_f32_e32 v4, v9, v4
	v_sub_f32_e32 v5, v13, v5
	v_addc_co_u32_e32 v2, vcc, v32, v2, vcc
	v_fma_f32 v6, v9, 2.0, -v4
	v_fma_f32 v7, v13, 2.0, -v5
	v_sub_f32_e32 v13, v15, v19
	v_add_f32_e32 v19, v16, v34
	global_store_dwordx2 v[1:2], v[6:7], off
	v_fma_f32 v6, v15, 2.0, -v13
	v_fma_f32 v7, v16, 2.0, -v19
	v_sub_f32_e32 v15, v11, v23
	v_add_f32_e32 v16, v27, v20
	v_fma_f32 v9, v11, 2.0, -v15
	v_fma_f32 v11, v27, 2.0, -v16
	v_mov_b32_e32 v20, v6
	v_mov_b32_e32 v22, v7
	v_fmac_f32_e32 v20, 0xbf3504f3, v9
	v_fmac_f32_e32 v22, 0xbf3504f3, v11
	v_sub_f32_e32 v21, v35, v21
	v_add_f32_e32 v18, v36, v18
	v_fmac_f32_e32 v20, 0xbf3504f3, v11
	v_fmac_f32_e32 v22, 0x3f3504f3, v9
	v_fma_f32 v9, v35, 2.0, -v21
	v_fma_f32 v11, v36, 2.0, -v18
	v_sub_f32_e32 v23, v37, v8
	v_add_f32_e32 v25, v17, v38
	v_fma_f32 v8, v37, 2.0, -v23
	v_fma_f32 v17, v17, 2.0, -v25
	v_mov_b32_e32 v27, v9
	v_mov_b32_e32 v34, v11
	s_lshl_b32 s0, s16, 4
	v_fmac_f32_e32 v27, 0xbf3504f3, v8
	v_fmac_f32_e32 v34, 0xbf3504f3, v17
	v_add_u32_e32 v2, s0, v0
	v_fmac_f32_e32 v27, 0xbf3504f3, v17
	v_fmac_f32_e32 v34, 0x3f3504f3, v8
	v_fma_f32 v8, v6, 2.0, -v20
	v_fma_f32 v17, v7, 2.0, -v22
	v_lshlrev_b64 v[0:1], 3, v[2:3]
	v_fma_f32 v9, v9, 2.0, -v27
	v_fma_f32 v11, v11, 2.0, -v34
	v_mov_b32_e32 v6, v8
	v_mov_b32_e32 v7, v17
	v_fmac_f32_e32 v6, 0xbf6c835e, v9
	v_fmac_f32_e32 v7, 0xbf6c835e, v11
	v_add_co_u32_e32 v0, vcc, v33, v0
	v_fmac_f32_e32 v6, 0xbec3ef15, v11
	v_fmac_f32_e32 v7, 0x3ec3ef15, v9
	v_sub_f32_e32 v30, v10, v30
	v_add_f32_e32 v29, v39, v29
	v_addc_co_u32_e32 v1, vcc, v32, v1, vcc
	v_fma_f32 v8, v8, 2.0, -v6
	v_fma_f32 v9, v17, 2.0, -v7
	v_add_u32_e32 v2, s0, v2
	v_fma_f32 v10, v10, 2.0, -v30
	v_fma_f32 v11, v39, 2.0, -v29
	v_sub_f32_e32 v31, v12, v31
	v_add_f32_e32 v28, v24, v28
	global_store_dwordx2 v[0:1], v[8:9], off
	v_lshlrev_b64 v[0:1], 3, v[2:3]
	v_fma_f32 v12, v12, 2.0, -v31
	v_fma_f32 v17, v24, 2.0, -v28
	v_mov_b32_e32 v8, v10
	v_mov_b32_e32 v9, v11
	v_mov_b32_e32 v24, v13
	v_mov_b32_e32 v35, v19
	v_fmac_f32_e32 v8, 0xbf3504f3, v12
	v_fmac_f32_e32 v9, 0xbf3504f3, v17
	;; [unrolled: 1-line block ×4, first 2 shown]
	v_mov_b32_e32 v36, v21
	v_mov_b32_e32 v37, v18
	v_add_co_u32_e32 v0, vcc, v33, v0
	v_fmac_f32_e32 v8, 0xbf3504f3, v17
	v_fmac_f32_e32 v9, 0x3f3504f3, v12
	;; [unrolled: 1-line block ×6, first 2 shown]
	v_addc_co_u32_e32 v1, vcc, v32, v1, vcc
	v_fma_f32 v10, v10, 2.0, -v8
	v_fma_f32 v11, v11, 2.0, -v9
	v_add_u32_e32 v2, s0, v2
	v_fmac_f32_e32 v36, 0xbf3504f3, v25
	v_fmac_f32_e32 v37, 0x3f3504f3, v23
	v_fma_f32 v12, v13, 2.0, -v24
	v_fma_f32 v13, v19, 2.0, -v35
	global_store_dwordx2 v[0:1], v[10:11], off
	v_lshlrev_b64 v[0:1], 3, v[2:3]
	v_fma_f32 v15, v21, 2.0, -v36
	v_fma_f32 v16, v18, 2.0, -v37
	v_mov_b32_e32 v10, v12
	v_mov_b32_e32 v11, v13
	v_fmac_f32_e32 v10, 0xbec3ef15, v15
	v_fmac_f32_e32 v11, 0xbec3ef15, v16
	v_add_co_u32_e32 v0, vcc, v33, v0
	v_fmac_f32_e32 v10, 0xbf6c835e, v16
	v_fmac_f32_e32 v11, 0x3f6c835e, v15
	v_addc_co_u32_e32 v1, vcc, v32, v1, vcc
	v_fma_f32 v12, v12, 2.0, -v10
	v_fma_f32 v13, v13, 2.0, -v11
	v_add_u32_e32 v2, s0, v2
	global_store_dwordx2 v[0:1], v[12:13], off
	v_lshlrev_b64 v[0:1], 3, v[2:3]
	v_sub_f32_e32 v12, v14, v41
	v_add_co_u32_e32 v0, vcc, v33, v0
	v_add_f32_e32 v13, v26, v40
	v_addc_co_u32_e32 v1, vcc, v32, v1, vcc
	v_fma_f32 v14, v14, 2.0, -v12
	v_fma_f32 v15, v26, 2.0, -v13
	v_add_u32_e32 v2, s0, v2
	global_store_dwordx2 v[0:1], v[14:15], off
	v_lshlrev_b64 v[0:1], 3, v[2:3]
	v_mov_b32_e32 v14, v20
	v_mov_b32_e32 v15, v22
	v_fmac_f32_e32 v14, 0x3ec3ef15, v27
	v_fmac_f32_e32 v15, 0x3ec3ef15, v34
	v_add_co_u32_e32 v0, vcc, v33, v0
	v_fmac_f32_e32 v14, 0xbf6c835e, v34
	v_fmac_f32_e32 v15, 0x3f6c835e, v27
	v_addc_co_u32_e32 v1, vcc, v32, v1, vcc
	v_fma_f32 v16, v20, 2.0, -v14
	v_fma_f32 v17, v22, 2.0, -v15
	v_add_u32_e32 v2, s0, v2
	global_store_dwordx2 v[0:1], v[16:17], off
	v_lshlrev_b64 v[0:1], 3, v[2:3]
	v_mov_b32_e32 v16, v30
	v_mov_b32_e32 v17, v29
	v_fmac_f32_e32 v16, 0x3f3504f3, v31
	v_fmac_f32_e32 v17, 0x3f3504f3, v28
	v_add_co_u32_e32 v0, vcc, v33, v0
	v_fmac_f32_e32 v16, 0xbf3504f3, v28
	v_fmac_f32_e32 v17, 0x3f3504f3, v31
	v_addc_co_u32_e32 v1, vcc, v32, v1, vcc
	v_fma_f32 v18, v30, 2.0, -v16
	v_fma_f32 v19, v29, 2.0, -v17
	v_add_u32_e32 v2, s0, v2
	global_store_dwordx2 v[0:1], v[18:19], off
	v_lshlrev_b64 v[0:1], 3, v[2:3]
	v_mov_b32_e32 v18, v24
	v_mov_b32_e32 v19, v35
	v_fmac_f32_e32 v18, 0x3f6c835e, v36
	v_fmac_f32_e32 v19, 0x3f6c835e, v37
	v_add_co_u32_e32 v0, vcc, v33, v0
	v_fmac_f32_e32 v18, 0xbec3ef15, v37
	v_fmac_f32_e32 v19, 0x3ec3ef15, v36
	v_addc_co_u32_e32 v1, vcc, v32, v1, vcc
	v_fma_f32 v20, v24, 2.0, -v18
	v_fma_f32 v21, v35, 2.0, -v19
	v_add_u32_e32 v2, s0, v2
	global_store_dwordx2 v[0:1], v[20:21], off
	v_lshlrev_b64 v[0:1], 3, v[2:3]
	v_add_u32_e32 v2, s0, v2
	v_add_co_u32_e32 v0, vcc, v33, v0
	v_addc_co_u32_e32 v1, vcc, v32, v1, vcc
	global_store_dwordx2 v[0:1], v[4:5], off
	v_lshlrev_b64 v[0:1], 3, v[2:3]
	v_add_u32_e32 v2, s0, v2
	v_add_co_u32_e32 v0, vcc, v33, v0
	v_addc_co_u32_e32 v1, vcc, v32, v1, vcc
	global_store_dwordx2 v[0:1], v[6:7], off
	v_lshlrev_b64 v[0:1], 3, v[2:3]
	v_add_u32_e32 v2, s0, v2
	v_add_co_u32_e32 v0, vcc, v33, v0
	v_addc_co_u32_e32 v1, vcc, v32, v1, vcc
	global_store_dwordx2 v[0:1], v[8:9], off
	v_lshlrev_b64 v[0:1], 3, v[2:3]
	v_add_u32_e32 v2, s0, v2
	v_add_co_u32_e32 v0, vcc, v33, v0
	v_addc_co_u32_e32 v1, vcc, v32, v1, vcc
	global_store_dwordx2 v[0:1], v[10:11], off
	v_lshlrev_b64 v[0:1], 3, v[2:3]
	v_add_u32_e32 v2, s0, v2
	v_add_co_u32_e32 v0, vcc, v33, v0
	v_addc_co_u32_e32 v1, vcc, v32, v1, vcc
	global_store_dwordx2 v[0:1], v[12:13], off
	v_lshlrev_b64 v[0:1], 3, v[2:3]
	v_add_u32_e32 v2, s0, v2
	v_add_co_u32_e32 v0, vcc, v33, v0
	v_addc_co_u32_e32 v1, vcc, v32, v1, vcc
	global_store_dwordx2 v[0:1], v[14:15], off
	v_lshlrev_b64 v[0:1], 3, v[2:3]
	v_add_u32_e32 v2, s0, v2
	v_add_co_u32_e32 v0, vcc, v33, v0
	v_addc_co_u32_e32 v1, vcc, v32, v1, vcc
	global_store_dwordx2 v[0:1], v[16:17], off
	v_lshlrev_b64 v[0:1], 3, v[2:3]
	v_add_co_u32_e32 v0, vcc, v33, v0
	v_addc_co_u32_e32 v1, vcc, v32, v1, vcc
	global_store_dwordx2 v[0:1], v[18:19], off
	s_endpgm
	.section	.rodata,"a",@progbits
	.p2align	6, 0x0
	.amdhsa_kernel fft_rtc_fwd_len256_factors_4_2_2_16_wgs_256_tpt_16_dim3_sp_op_CI_CI_unitstride_sbrc_xy_z_aligned_dirReg
		.amdhsa_group_segment_fixed_size 0
		.amdhsa_private_segment_fixed_size 0
		.amdhsa_kernarg_size 96
		.amdhsa_user_sgpr_count 6
		.amdhsa_user_sgpr_private_segment_buffer 1
		.amdhsa_user_sgpr_dispatch_ptr 0
		.amdhsa_user_sgpr_queue_ptr 0
		.amdhsa_user_sgpr_kernarg_segment_ptr 1
		.amdhsa_user_sgpr_dispatch_id 0
		.amdhsa_user_sgpr_flat_scratch_init 0
		.amdhsa_user_sgpr_private_segment_size 0
		.amdhsa_uses_dynamic_stack 0
		.amdhsa_system_sgpr_private_segment_wavefront_offset 0
		.amdhsa_system_sgpr_workgroup_id_x 1
		.amdhsa_system_sgpr_workgroup_id_y 0
		.amdhsa_system_sgpr_workgroup_id_z 0
		.amdhsa_system_sgpr_workgroup_info 0
		.amdhsa_system_vgpr_workitem_id 0
		.amdhsa_next_free_vgpr 57
		.amdhsa_next_free_sgpr 28
		.amdhsa_reserve_vcc 1
		.amdhsa_reserve_flat_scratch 0
		.amdhsa_float_round_mode_32 0
		.amdhsa_float_round_mode_16_64 0
		.amdhsa_float_denorm_mode_32 3
		.amdhsa_float_denorm_mode_16_64 3
		.amdhsa_dx10_clamp 1
		.amdhsa_ieee_mode 1
		.amdhsa_fp16_overflow 0
		.amdhsa_exception_fp_ieee_invalid_op 0
		.amdhsa_exception_fp_denorm_src 0
		.amdhsa_exception_fp_ieee_div_zero 0
		.amdhsa_exception_fp_ieee_overflow 0
		.amdhsa_exception_fp_ieee_underflow 0
		.amdhsa_exception_fp_ieee_inexact 0
		.amdhsa_exception_int_div_zero 0
	.end_amdhsa_kernel
	.text
.Lfunc_end0:
	.size	fft_rtc_fwd_len256_factors_4_2_2_16_wgs_256_tpt_16_dim3_sp_op_CI_CI_unitstride_sbrc_xy_z_aligned_dirReg, .Lfunc_end0-fft_rtc_fwd_len256_factors_4_2_2_16_wgs_256_tpt_16_dim3_sp_op_CI_CI_unitstride_sbrc_xy_z_aligned_dirReg
                                        ; -- End function
	.section	.AMDGPU.csdata,"",@progbits
; Kernel info:
; codeLenInByte = 5372
; NumSgprs: 32
; NumVgprs: 57
; ScratchSize: 0
; MemoryBound: 0
; FloatMode: 240
; IeeeMode: 1
; LDSByteSize: 0 bytes/workgroup (compile time only)
; SGPRBlocks: 3
; VGPRBlocks: 14
; NumSGPRsForWavesPerEU: 32
; NumVGPRsForWavesPerEU: 57
; Occupancy: 4
; WaveLimiterHint : 1
; COMPUTE_PGM_RSRC2:SCRATCH_EN: 0
; COMPUTE_PGM_RSRC2:USER_SGPR: 6
; COMPUTE_PGM_RSRC2:TRAP_HANDLER: 0
; COMPUTE_PGM_RSRC2:TGID_X_EN: 1
; COMPUTE_PGM_RSRC2:TGID_Y_EN: 0
; COMPUTE_PGM_RSRC2:TGID_Z_EN: 0
; COMPUTE_PGM_RSRC2:TIDIG_COMP_CNT: 0
	.type	__hip_cuid_228641b3c870d2ee,@object ; @__hip_cuid_228641b3c870d2ee
	.section	.bss,"aw",@nobits
	.globl	__hip_cuid_228641b3c870d2ee
__hip_cuid_228641b3c870d2ee:
	.byte	0                               ; 0x0
	.size	__hip_cuid_228641b3c870d2ee, 1

	.ident	"AMD clang version 19.0.0git (https://github.com/RadeonOpenCompute/llvm-project roc-6.4.0 25133 c7fe45cf4b819c5991fe208aaa96edf142730f1d)"
	.section	".note.GNU-stack","",@progbits
	.addrsig
	.addrsig_sym __hip_cuid_228641b3c870d2ee
	.amdgpu_metadata
---
amdhsa.kernels:
  - .args:
      - .actual_access:  read_only
        .address_space:  global
        .offset:         0
        .size:           8
        .value_kind:     global_buffer
      - .actual_access:  read_only
        .address_space:  global
        .offset:         8
        .size:           8
        .value_kind:     global_buffer
      - .actual_access:  read_only
        .address_space:  global
        .offset:         16
        .size:           8
        .value_kind:     global_buffer
      - .actual_access:  read_only
        .address_space:  global
        .offset:         24
        .size:           8
        .value_kind:     global_buffer
      - .offset:         32
        .size:           8
        .value_kind:     by_value
      - .actual_access:  read_only
        .address_space:  global
        .offset:         40
        .size:           8
        .value_kind:     global_buffer
      - .actual_access:  read_only
        .address_space:  global
        .offset:         48
        .size:           8
        .value_kind:     global_buffer
      - .offset:         56
        .size:           4
        .value_kind:     by_value
      - .actual_access:  read_only
        .address_space:  global
        .offset:         64
        .size:           8
        .value_kind:     global_buffer
      - .actual_access:  read_only
        .address_space:  global
        .offset:         72
        .size:           8
        .value_kind:     global_buffer
      - .actual_access:  read_only
        .address_space:  global
        .offset:         80
        .size:           8
        .value_kind:     global_buffer
      - .actual_access:  write_only
        .address_space:  global
        .offset:         88
        .size:           8
        .value_kind:     global_buffer
    .group_segment_fixed_size: 0
    .kernarg_segment_align: 8
    .kernarg_segment_size: 96
    .language:       OpenCL C
    .language_version:
      - 2
      - 0
    .max_flat_workgroup_size: 256
    .name:           fft_rtc_fwd_len256_factors_4_2_2_16_wgs_256_tpt_16_dim3_sp_op_CI_CI_unitstride_sbrc_xy_z_aligned_dirReg
    .private_segment_fixed_size: 0
    .sgpr_count:     32
    .sgpr_spill_count: 0
    .symbol:         fft_rtc_fwd_len256_factors_4_2_2_16_wgs_256_tpt_16_dim3_sp_op_CI_CI_unitstride_sbrc_xy_z_aligned_dirReg.kd
    .uniform_work_group_size: 1
    .uses_dynamic_stack: false
    .vgpr_count:     57
    .vgpr_spill_count: 0
    .wavefront_size: 64
amdhsa.target:   amdgcn-amd-amdhsa--gfx906
amdhsa.version:
  - 1
  - 2
...

	.end_amdgpu_metadata
